;; amdgpu-corpus repo=ROCm/rocFFT kind=compiled arch=gfx950 opt=O3
	.text
	.amdgcn_target "amdgcn-amd-amdhsa--gfx950"
	.amdhsa_code_object_version 6
	.protected	fft_rtc_fwd_len605_factors_11_5_11_wgs_55_tpt_55_sp_op_CI_CI_unitstride_sbrr_dirReg ; -- Begin function fft_rtc_fwd_len605_factors_11_5_11_wgs_55_tpt_55_sp_op_CI_CI_unitstride_sbrr_dirReg
	.globl	fft_rtc_fwd_len605_factors_11_5_11_wgs_55_tpt_55_sp_op_CI_CI_unitstride_sbrr_dirReg
	.p2align	8
	.type	fft_rtc_fwd_len605_factors_11_5_11_wgs_55_tpt_55_sp_op_CI_CI_unitstride_sbrr_dirReg,@function
fft_rtc_fwd_len605_factors_11_5_11_wgs_55_tpt_55_sp_op_CI_CI_unitstride_sbrr_dirReg: ; @fft_rtc_fwd_len605_factors_11_5_11_wgs_55_tpt_55_sp_op_CI_CI_unitstride_sbrr_dirReg
; %bb.0:
	s_load_dwordx4 s[4:7], s[0:1], 0x58
	s_load_dwordx4 s[8:11], s[0:1], 0x0
	;; [unrolled: 1-line block ×3, first 2 shown]
	v_mul_u32_u24_e32 v1, 0x4a8, v0
	v_add_u32_sdwa v6, s2, v1 dst_sel:DWORD dst_unused:UNUSED_PAD src0_sel:DWORD src1_sel:WORD_1
	v_mov_b32_e32 v2, 0
	s_waitcnt lgkmcnt(0)
	v_cmp_lt_u64_e64 s[2:3], s[10:11], 2
	v_mov_b32_e32 v7, v2
	s_and_b64 vcc, exec, s[2:3]
	v_mov_b64_e32 v[4:5], 0
	s_cbranch_vccnz .LBB0_8
; %bb.1:
	s_load_dwordx2 s[2:3], s[0:1], 0x10
	s_add_u32 s16, s14, 8
	s_addc_u32 s17, s15, 0
	s_add_u32 s18, s12, 8
	s_addc_u32 s19, s13, 0
	s_waitcnt lgkmcnt(0)
	s_add_u32 s20, s2, 8
	v_mov_b64_e32 v[4:5], 0
	s_addc_u32 s21, s3, 0
	s_mov_b64 s[22:23], 1
	v_mov_b64_e32 v[28:29], v[4:5]
.LBB0_2:                                ; =>This Inner Loop Header: Depth=1
	s_load_dwordx2 s[24:25], s[20:21], 0x0
                                        ; implicit-def: $vgpr30_vgpr31
	s_waitcnt lgkmcnt(0)
	v_or_b32_e32 v3, s25, v7
	v_cmp_ne_u64_e32 vcc, 0, v[2:3]
	s_and_saveexec_b64 s[2:3], vcc
	s_xor_b64 s[26:27], exec, s[2:3]
	s_cbranch_execz .LBB0_4
; %bb.3:                                ;   in Loop: Header=BB0_2 Depth=1
	v_cvt_f32_u32_e32 v1, s24
	v_cvt_f32_u32_e32 v3, s25
	s_sub_u32 s2, 0, s24
	s_subb_u32 s3, 0, s25
	v_fmac_f32_e32 v1, 0x4f800000, v3
	v_rcp_f32_e32 v1, v1
	s_nop 0
	v_mul_f32_e32 v1, 0x5f7ffffc, v1
	v_mul_f32_e32 v3, 0x2f800000, v1
	v_trunc_f32_e32 v3, v3
	v_fmac_f32_e32 v1, 0xcf800000, v3
	v_cvt_u32_f32_e32 v3, v3
	v_cvt_u32_f32_e32 v1, v1
	v_mul_lo_u32 v8, s2, v3
	v_mul_hi_u32 v10, s2, v1
	v_mul_lo_u32 v9, s3, v1
	v_add_u32_e32 v10, v10, v8
	v_mul_lo_u32 v12, s2, v1
	v_add_u32_e32 v13, v10, v9
	v_mul_hi_u32 v8, v1, v12
	v_mul_hi_u32 v11, v1, v13
	v_mul_lo_u32 v10, v1, v13
	v_mov_b32_e32 v9, v2
	v_lshl_add_u64 v[8:9], v[8:9], 0, v[10:11]
	v_mul_hi_u32 v11, v3, v12
	v_mul_lo_u32 v12, v3, v12
	v_add_co_u32_e32 v8, vcc, v8, v12
	v_mul_hi_u32 v10, v3, v13
	s_nop 0
	v_addc_co_u32_e32 v8, vcc, v9, v11, vcc
	v_mov_b32_e32 v9, v2
	s_nop 0
	v_addc_co_u32_e32 v11, vcc, 0, v10, vcc
	v_mul_lo_u32 v10, v3, v13
	v_lshl_add_u64 v[8:9], v[8:9], 0, v[10:11]
	v_add_co_u32_e32 v1, vcc, v1, v8
	v_mul_lo_u32 v10, s2, v1
	s_nop 0
	v_addc_co_u32_e32 v3, vcc, v3, v9, vcc
	v_mul_lo_u32 v8, s2, v3
	v_mul_hi_u32 v9, s2, v1
	v_add_u32_e32 v8, v9, v8
	v_mul_lo_u32 v9, s3, v1
	v_add_u32_e32 v12, v8, v9
	v_mul_hi_u32 v14, v3, v10
	v_mul_lo_u32 v15, v3, v10
	v_mul_hi_u32 v9, v1, v12
	v_mul_lo_u32 v8, v1, v12
	v_mul_hi_u32 v10, v1, v10
	v_mov_b32_e32 v11, v2
	v_lshl_add_u64 v[8:9], v[10:11], 0, v[8:9]
	v_add_co_u32_e32 v8, vcc, v8, v15
	v_mul_hi_u32 v13, v3, v12
	s_nop 0
	v_addc_co_u32_e32 v8, vcc, v9, v14, vcc
	v_mul_lo_u32 v10, v3, v12
	s_nop 0
	v_addc_co_u32_e32 v11, vcc, 0, v13, vcc
	v_mov_b32_e32 v9, v2
	v_lshl_add_u64 v[8:9], v[8:9], 0, v[10:11]
	v_add_co_u32_e32 v1, vcc, v1, v8
	v_mul_hi_u32 v10, v6, v1
	s_nop 0
	v_addc_co_u32_e32 v3, vcc, v3, v9, vcc
	v_mad_u64_u32 v[8:9], s[2:3], v6, v3, 0
	v_mov_b32_e32 v11, v2
	v_lshl_add_u64 v[8:9], v[10:11], 0, v[8:9]
	v_mad_u64_u32 v[12:13], s[2:3], v7, v1, 0
	v_add_co_u32_e32 v1, vcc, v8, v12
	v_mad_u64_u32 v[10:11], s[2:3], v7, v3, 0
	s_nop 0
	v_addc_co_u32_e32 v8, vcc, v9, v13, vcc
	v_mov_b32_e32 v9, v2
	s_nop 0
	v_addc_co_u32_e32 v11, vcc, 0, v11, vcc
	v_lshl_add_u64 v[8:9], v[8:9], 0, v[10:11]
	v_mul_lo_u32 v1, s25, v8
	v_mul_lo_u32 v3, s24, v9
	v_mad_u64_u32 v[10:11], s[2:3], s24, v8, 0
	v_add3_u32 v1, v11, v3, v1
	v_sub_u32_e32 v3, v7, v1
	v_mov_b32_e32 v11, s25
	v_sub_co_u32_e32 v14, vcc, v6, v10
	v_lshl_add_u64 v[12:13], v[8:9], 0, 1
	s_nop 0
	v_subb_co_u32_e64 v3, s[2:3], v3, v11, vcc
	v_subrev_co_u32_e64 v10, s[2:3], s24, v14
	v_subb_co_u32_e32 v1, vcc, v7, v1, vcc
	s_nop 0
	v_subbrev_co_u32_e64 v3, s[2:3], 0, v3, s[2:3]
	v_cmp_le_u32_e64 s[2:3], s25, v3
	v_cmp_le_u32_e32 vcc, s25, v1
	s_nop 0
	v_cndmask_b32_e64 v11, 0, -1, s[2:3]
	v_cmp_le_u32_e64 s[2:3], s24, v10
	s_nop 1
	v_cndmask_b32_e64 v10, 0, -1, s[2:3]
	v_cmp_eq_u32_e64 s[2:3], s25, v3
	s_nop 1
	v_cndmask_b32_e64 v3, v11, v10, s[2:3]
	v_lshl_add_u64 v[10:11], v[8:9], 0, 2
	v_cmp_ne_u32_e64 s[2:3], 0, v3
	s_nop 1
	v_cndmask_b32_e64 v3, v13, v11, s[2:3]
	v_cndmask_b32_e64 v11, 0, -1, vcc
	v_cmp_le_u32_e32 vcc, s24, v14
	s_nop 1
	v_cndmask_b32_e64 v13, 0, -1, vcc
	v_cmp_eq_u32_e32 vcc, s25, v1
	s_nop 1
	v_cndmask_b32_e32 v1, v11, v13, vcc
	v_cmp_ne_u32_e32 vcc, 0, v1
	v_cndmask_b32_e64 v1, v12, v10, s[2:3]
	s_nop 0
	v_cndmask_b32_e32 v31, v9, v3, vcc
	v_cndmask_b32_e32 v30, v8, v1, vcc
.LBB0_4:                                ;   in Loop: Header=BB0_2 Depth=1
	s_andn2_saveexec_b64 s[2:3], s[26:27]
	s_cbranch_execz .LBB0_6
; %bb.5:                                ;   in Loop: Header=BB0_2 Depth=1
	v_cvt_f32_u32_e32 v1, s24
	s_sub_i32 s26, 0, s24
	v_mov_b32_e32 v31, v2
	v_rcp_iflag_f32_e32 v1, v1
	s_nop 0
	v_mul_f32_e32 v1, 0x4f7ffffe, v1
	v_cvt_u32_f32_e32 v1, v1
	v_mul_lo_u32 v3, s26, v1
	v_mul_hi_u32 v3, v1, v3
	v_add_u32_e32 v1, v1, v3
	v_mul_hi_u32 v1, v6, v1
	v_mul_lo_u32 v3, v1, s24
	v_sub_u32_e32 v3, v6, v3
	v_add_u32_e32 v8, 1, v1
	v_subrev_u32_e32 v9, s24, v3
	v_cmp_le_u32_e32 vcc, s24, v3
	s_nop 1
	v_cndmask_b32_e32 v3, v3, v9, vcc
	v_cndmask_b32_e32 v1, v1, v8, vcc
	v_add_u32_e32 v8, 1, v1
	v_cmp_le_u32_e32 vcc, s24, v3
	s_nop 1
	v_cndmask_b32_e32 v30, v1, v8, vcc
.LBB0_6:                                ;   in Loop: Header=BB0_2 Depth=1
	s_or_b64 exec, exec, s[2:3]
	v_mad_u64_u32 v[8:9], s[2:3], v30, s24, 0
	s_load_dwordx2 s[2:3], s[18:19], 0x0
	v_mul_lo_u32 v1, v31, s24
	v_mul_lo_u32 v3, v30, s25
	s_load_dwordx2 s[24:25], s[16:17], 0x0
	s_add_u32 s22, s22, 1
	v_add3_u32 v1, v9, v3, v1
	v_sub_co_u32_e32 v3, vcc, v6, v8
	s_addc_u32 s23, s23, 0
	s_nop 0
	v_subb_co_u32_e32 v1, vcc, v7, v1, vcc
	s_add_u32 s16, s16, 8
	s_waitcnt lgkmcnt(0)
	v_mul_lo_u32 v6, s2, v1
	v_mul_lo_u32 v7, s3, v3
	v_mad_u64_u32 v[4:5], s[2:3], s2, v3, v[4:5]
	s_addc_u32 s17, s17, 0
	v_add3_u32 v5, v7, v5, v6
	v_mul_lo_u32 v1, s24, v1
	v_mul_lo_u32 v6, s25, v3
	v_mad_u64_u32 v[28:29], s[2:3], s24, v3, v[28:29]
	s_add_u32 s18, s18, 8
	v_add3_u32 v29, v6, v29, v1
	s_addc_u32 s19, s19, 0
	v_mov_b64_e32 v[6:7], s[10:11]
	s_add_u32 s20, s20, 8
	v_cmp_ge_u64_e32 vcc, s[22:23], v[6:7]
	s_addc_u32 s21, s21, 0
	s_cbranch_vccnz .LBB0_9
; %bb.7:                                ;   in Loop: Header=BB0_2 Depth=1
	v_mov_b64_e32 v[6:7], v[30:31]
	s_branch .LBB0_2
.LBB0_8:
	v_mov_b64_e32 v[28:29], v[4:5]
	v_mov_b64_e32 v[30:31], v[6:7]
.LBB0_9:
	s_load_dwordx2 s[0:1], s[0:1], 0x28
	s_lshl_b64 s[16:17], s[10:11], 3
	s_add_u32 s2, s14, s16
	s_addc_u32 s3, s15, s17
                                        ; implicit-def: $sgpr18
                                        ; implicit-def: $sgpr14_sgpr15
                                        ; implicit-def: $vgpr34
	s_waitcnt lgkmcnt(0)
	v_cmp_gt_u64_e32 vcc, s[0:1], v[30:31]
	v_cmp_le_u64_e64 s[0:1], s[0:1], v[30:31]
	s_and_saveexec_b64 s[10:11], s[0:1]
	s_xor_b64 s[0:1], exec, s[10:11]
; %bb.10:
	s_mov_b32 s10, 0x4a7904b
	v_mul_hi_u32 v1, v0, s10
	v_mul_u32_u24_e32 v1, 55, v1
	v_sub_u32_e32 v34, v0, v1
	s_mov_b64 s[14:15], 0
	s_mov_b32 s18, 0
                                        ; implicit-def: $vgpr0
                                        ; implicit-def: $vgpr4_vgpr5
; %bb.11:
	s_or_saveexec_b64 s[10:11], s[0:1]
	v_mov_b64_e32 v[32:33], s[14:15]
	v_mov_b32_e32 v2, s18
	v_mov_b32_e32 v3, s18
                                        ; implicit-def: $vgpr24
                                        ; implicit-def: $vgpr44
                                        ; implicit-def: $vgpr40
                                        ; implicit-def: $vgpr26
                                        ; implicit-def: $vgpr38
                                        ; implicit-def: $vgpr46
                                        ; implicit-def: $vgpr48
                                        ; implicit-def: $vgpr36
                                        ; implicit-def: $vgpr42
                                        ; implicit-def: $vgpr22
	s_xor_b64 exec, exec, s[10:11]
	s_cbranch_execz .LBB0_13
; %bb.12:
	s_add_u32 s0, s12, s16
	s_addc_u32 s1, s13, s17
	s_load_dwordx2 s[0:1], s[0:1], 0x0
	s_mov_b32 s12, 0x4a7904b
	v_mov_b32_e32 v35, 0
	s_waitcnt lgkmcnt(0)
	v_mul_lo_u32 v1, s1, v30
	v_mul_lo_u32 v6, s0, v31
	v_mad_u64_u32 v[2:3], s[0:1], s0, v30, 0
	v_add3_u32 v3, v3, v6, v1
	v_mul_hi_u32 v1, v0, s12
	v_mul_u32_u24_e32 v1, 55, v1
	v_sub_u32_e32 v34, v0, v1
	v_lshl_add_u64 v[0:1], v[2:3], 3, s[4:5]
	v_lshl_add_u64 v[0:1], v[4:5], 3, v[0:1]
	v_lshlrev_b32_e32 v2, 3, v34
	v_mov_b32_e32 v3, v35
	v_lshl_add_u64 v[0:1], v[0:1], 0, v[2:3]
	global_load_dwordx2 v[2:3], v[0:1], off
	global_load_dwordx2 v[22:23], v[0:1], off offset:440
	global_load_dwordx2 v[42:43], v[0:1], off offset:880
	;; [unrolled: 1-line block ×7, first 2 shown]
	s_movk_i32 s0, 0x1000
	v_add_co_u32_e64 v4, s[0:1], s0, v0
	v_mov_b64_e32 v[32:33], v[34:35]
	s_nop 0
	v_addc_co_u32_e64 v5, s[0:1], 0, v1, s[0:1]
	global_load_dwordx2 v[40:41], v[0:1], off offset:3520
	global_load_dwordx2 v[44:45], v[0:1], off offset:3960
	;; [unrolled: 1-line block ×3, first 2 shown]
.LBB0_13:
	s_or_b64 exec, exec, s[10:11]
	s_waitcnt vmcnt(9)
	v_pk_add_f32 v[50:51], v[22:23], v[2:3]
	s_waitcnt vmcnt(3)
	v_pk_add_f32 v[10:11], v[48:49], v[26:27] neg_lo:[0,1] neg_hi:[0,1]
	v_pk_add_f32 v[50:51], v[42:43], v[50:51]
	v_pk_add_f32 v[4:5], v[48:49], v[26:27]
	;; [unrolled: 1-line block ×3, first 2 shown]
	v_pk_add_f32 v[12:13], v[46:47], v[38:39] neg_lo:[0,1] neg_hi:[0,1]
	v_pk_add_f32 v[48:49], v[48:49], v[50:51]
	v_pk_add_f32 v[6:7], v[46:47], v[38:39]
	;; [unrolled: 1-line block ×3, first 2 shown]
	s_movk_i32 s10, 0x58
	v_pk_add_f32 v[38:39], v[38:39], v[46:47]
	v_mad_u32_u24 v35, v34, s10, 0
	v_pk_add_f32 v[26:27], v[26:27], v[38:39]
	s_waitcnt vmcnt(0)
	v_pk_add_f32 v[38:39], v[22:23], v[24:25] neg_lo:[0,1] neg_hi:[0,1]
	v_pk_add_f32 v[26:27], v[40:41], v[26:27]
	s_mov_b32 s10, 0xbf0a6770
	v_pk_add_f32 v[26:27], v[44:45], v[26:27]
	s_mov_b32 s20, 0x3f575c64
	v_pk_add_f32 v[52:53], v[24:25], v[26:27]
	v_pk_add_f32 v[26:27], v[22:23], v[24:25]
	v_pk_mul_f32 v[22:23], v[38:39], s[10:11] op_sel_hi:[1,0]
	v_pk_add_f32 v[50:51], v[42:43], v[44:45]
	v_pk_fma_f32 v[24:25], v[26:27], s[20:21], v[22:23] op_sel:[0,0,1] op_sel_hi:[1,0,0] neg_lo:[0,0,1] neg_hi:[0,0,1]
	v_pk_fma_f32 v[22:23], v[26:27], s[20:21], v[22:23] op_sel:[0,0,1] op_sel_hi:[1,0,0]
	v_pk_add_f32 v[56:57], v[42:43], v[44:45] neg_lo:[0,1] neg_hi:[0,1]
	s_mov_b32 s12, 0x3f7d64f0
	v_mov_b32_e32 v46, v24
	v_mov_b32_e32 v47, v23
	v_pk_add_f32 v[58:59], v[36:37], v[40:41]
	v_pk_add_f32 v[60:61], v[36:37], v[40:41] neg_lo:[0,1] neg_hi:[0,1]
	s_mov_b32 s13, 0xbe11bafb
	v_mov_b32_e32 v36, v57
	v_mov_b32_e32 v37, v51
	s_mov_b32 s19, 0x3ed4b147
	s_mov_b32 s18, 0xbf68dda4
	v_pk_add_f32 v[62:63], v[46:47], v[2:3]
	v_pk_mul_f32 v[46:47], v[36:37], s[18:19]
	v_mov_b32_e32 v48, v50
	v_mov_b32_e32 v49, v56
	s_mov_b32 s24, s19
	s_mov_b32 s25, s18
	v_mov_b32_e32 v36, v61
	v_mov_b32_e32 v37, v59
	s_mov_b32 s22, 0xbf7d64f0
	s_mov_b32 s23, s13
	;; [unrolled: 1-line block ×3, first 2 shown]
	v_pk_fma_f32 v[54:55], v[48:49], s[24:25], v[46:47]
	v_pk_mul_f32 v[66:67], v[36:37], s[22:23]
	v_mov_b32_e32 v68, v58
	v_mov_b32_e32 v69, v60
	s_mov_b32 s26, s13
	s_mov_b32 s27, s22
	v_pk_fma_f32 v[36:37], v[48:49], s[24:25], v[46:47] neg_lo:[0,0,1] neg_hi:[0,0,1]
	v_mov_b32_e32 v0, v4
	v_mov_b32_e32 v4, v11
	s_mov_b32 s1, 0xbf27a4f4
	v_pk_fma_f32 v[70:71], v[68:69], s[26:27], v[66:67]
	v_mov_b32_e32 v37, v55
	v_pk_fma_f32 v[40:41], v[68:69], s[26:27], v[66:67] neg_lo:[0,0,1] neg_hi:[0,0,1]
	v_mov_b32_e32 v1, v10
	v_pk_mul_f32 v[14:15], v[4:5], s[0:1]
	s_mov_b32 s14, s1
	s_mov_b32 s15, s0
	;; [unrolled: 1-line block ×3, first 2 shown]
	v_pk_add_f32 v[36:37], v[36:37], v[62:63]
	v_mov_b32_e32 v41, v71
	v_mov_b32_e32 v8, v6
	;; [unrolled: 1-line block ×3, first 2 shown]
	v_pk_fma_f32 v[16:17], v[0:1], s[14:15], v[14:15]
	s_mov_b32 s5, 0xbf75a155
	v_pk_add_f32 v[36:37], v[40:41], v[36:37]
	v_pk_fma_f32 v[40:41], v[0:1], s[14:15], v[14:15] neg_lo:[0,0,1] neg_hi:[0,0,1]
	v_mov_b32_e32 v9, v12
	v_pk_mul_f32 v[18:19], v[6:7], s[4:5]
	s_mov_b32 s16, s5
	s_mov_b32 s17, s4
	v_mov_b32_e32 v41, v17
	v_pk_fma_f32 v[20:21], v[8:9], s[16:17], v[18:19]
	v_pk_add_f32 v[36:37], v[40:41], v[36:37]
	v_pk_fma_f32 v[40:41], v[8:9], s[16:17], v[18:19] neg_lo:[0,0,1] neg_hi:[0,0,1]
	s_mov_b32 s30, s1
	v_mov_b32_e32 v41, v21
	v_pk_add_f32 v[36:37], v[40:41], v[36:37]
	v_pk_mul_f32 v[40:41], v[56:57], s[0:1] op_sel_hi:[1,0]
	s_mov_b32 s36, s19
	v_pk_mul_f32 v[42:43], v[38:39], s[18:19] op_sel_hi:[1,0]
	ds_write2_b64 v35, v[52:53], v[36:37] offset1:1
	v_pk_fma_f32 v[44:45], v[50:51], s[30:31], v[40:41] op_sel:[0,0,1] op_sel_hi:[1,0,0] neg_lo:[0,0,1] neg_hi:[0,0,1]
	v_pk_fma_f32 v[36:37], v[50:51], s[30:31], v[40:41] op_sel:[0,0,1] op_sel_hi:[1,0,0]
	v_pk_fma_f32 v[40:41], v[26:27], s[36:37], v[42:43] op_sel:[0,0,1] op_sel_hi:[1,0,0] neg_lo:[0,0,1] neg_hi:[0,0,1]
	v_pk_fma_f32 v[42:43], v[26:27], s[36:37], v[42:43] op_sel:[0,0,1] op_sel_hi:[1,0,0]
	v_mov_b32_e32 v62, v40
	v_mov_b32_e32 v63, v43
	;; [unrolled: 1-line block ×4, first 2 shown]
	v_pk_add_f32 v[62:63], v[62:63], v[2:3]
	s_mov_b32 s18, 0x3e903f40
	v_pk_add_f32 v[62:63], v[52:53], v[62:63]
	s_mov_b32 s34, s5
	v_pk_mul_f32 v[52:53], v[60:61], s[18:19] op_sel_hi:[1,0]
	s_mov_b32 s28, s13
	v_pk_fma_f32 v[64:65], v[58:59], s[34:35], v[52:53] op_sel:[0,0,1] op_sel_hi:[1,0,0] neg_lo:[0,0,1] neg_hi:[0,0,1]
	v_pk_fma_f32 v[52:53], v[58:59], s[34:35], v[52:53] op_sel:[0,0,1] op_sel_hi:[1,0,0]
	s_mov_b32 s29, s12
	v_mov_b32_e32 v72, v64
	v_mov_b32_e32 v73, v53
	v_pk_mul_f32 v[74:75], v[0:1], s[28:29]
	v_pk_add_f32 v[72:73], v[72:73], v[62:63]
	v_pk_fma_f32 v[76:77], v[10:11], s[12:13], v[74:75] op_sel:[1,0,0] neg_lo:[1,0,0] neg_hi:[1,0,0]
	v_pk_fma_f32 v[62:63], v[4:5], s[12:13], v[74:75]
	s_mov_b32 s28, 0x3f0a6770
	v_mov_b32_e32 v77, v63
	s_mov_b32 s21, s28
	v_pk_add_f32 v[78:79], v[76:77], v[72:73]
	s_mov_b32 s29, s20
	v_pk_mul_f32 v[76:77], v[8:9], s[20:21]
	s_mov_b32 s38, s13
	v_pk_fma_f32 v[80:81], v[12:13], s[28:29], v[76:77] op_sel:[1,0,0] neg_lo:[1,0,0] neg_hi:[1,0,0]
	v_pk_fma_f32 v[72:73], v[6:7], s[28:29], v[76:77]
	v_pk_mul_f32 v[86:87], v[56:57], s[18:19] op_sel_hi:[1,0]
	v_mov_b32_e32 v81, v73
	v_pk_add_f32 v[78:79], v[80:81], v[78:79]
	v_pk_mul_f32 v[80:81], v[38:39], s[22:23] op_sel_hi:[1,0]
	v_pk_fma_f32 v[88:89], v[50:51], s[34:35], v[86:87] op_sel:[0,0,1] op_sel_hi:[1,0,0] neg_lo:[0,0,1] neg_hi:[0,0,1]
	v_pk_fma_f32 v[82:83], v[26:27], s[38:39], v[80:81] op_sel:[0,0,1] op_sel_hi:[1,0,0] neg_lo:[0,0,1] neg_hi:[0,0,1]
	v_pk_fma_f32 v[80:81], v[26:27], s[38:39], v[80:81] op_sel:[0,0,1] op_sel_hi:[1,0,0]
	v_mov_b32_e32 v84, v82
	v_mov_b32_e32 v85, v81
	v_pk_fma_f32 v[86:87], v[50:51], s[34:35], v[86:87] op_sel:[0,0,1] op_sel_hi:[1,0,0]
	v_pk_add_f32 v[84:85], v[84:85], v[2:3]
	v_mov_b32_e32 v90, v88
	v_mov_b32_e32 v91, v87
	s_mov_b32 s18, 0x3f68dda4
	v_pk_add_f32 v[84:85], v[90:91], v[84:85]
	v_pk_mul_f32 v[90:91], v[60:61], s[18:19] op_sel_hi:[1,0]
	s_mov_b32 s21, s10
	v_pk_fma_f32 v[92:93], v[58:59], s[36:37], v[90:91] op_sel:[0,0,1] op_sel_hi:[1,0,0] neg_lo:[0,0,1] neg_hi:[0,0,1]
	v_pk_fma_f32 v[90:91], v[58:59], s[36:37], v[90:91] op_sel:[0,0,1] op_sel_hi:[1,0,0]
	v_mov_b32_e32 v94, v92
	v_mov_b32_e32 v95, v91
	v_pk_add_f32 v[84:85], v[94:95], v[84:85]
	s_mov_b32 s11, s20
	v_pk_mul_f32 v[94:95], v[0:1], s[20:21]
	v_pk_mul_f32 v[104:105], v[56:57], s[12:13] op_sel_hi:[1,0]
	v_pk_fma_f32 v[96:97], v[10:11], s[10:11], v[94:95] op_sel:[1,0,0] neg_lo:[1,0,0] neg_hi:[1,0,0]
	v_pk_fma_f32 v[98:99], v[4:5], s[10:11], v[94:95]
	v_pk_fma_f32 v[106:107], v[50:51], s[38:39], v[104:105] op_sel:[0,0,1] op_sel_hi:[1,0,0] neg_lo:[0,0,1] neg_hi:[0,0,1]
	v_mov_b32_e32 v97, v99
	v_pk_add_f32 v[84:85], v[96:97], v[84:85]
	v_pk_mul_f32 v[96:97], v[8:9], s[14:15]
	v_pk_fma_f32 v[104:105], v[50:51], s[38:39], v[104:105] op_sel:[0,0,1] op_sel_hi:[1,0,0]
	v_pk_fma_f32 v[100:101], v[12:13], s[0:1], v[96:97] op_sel:[1,0,0] neg_lo:[1,0,0] neg_hi:[1,0,0]
	v_pk_fma_f32 v[102:103], v[6:7], s[0:1], v[96:97]
	v_mov_b32_e32 v108, v106
	v_mov_b32_e32 v101, v103
	v_pk_add_f32 v[84:85], v[100:101], v[84:85]
	ds_write2_b64 v35, v[78:79], v[84:85] offset0:2 offset1:3
	v_pk_mul_f32 v[78:79], v[38:39], s[0:1] op_sel_hi:[1,0]
	v_mov_b32_e32 v109, v105
	v_pk_fma_f32 v[84:85], v[26:27], s[30:31], v[78:79] op_sel:[0,0,1] op_sel_hi:[1,0,0] neg_lo:[0,0,1] neg_hi:[0,0,1]
	v_pk_fma_f32 v[78:79], v[26:27], s[30:31], v[78:79] op_sel:[0,0,1] op_sel_hi:[1,0,0]
	v_mov_b32_e32 v100, v84
	v_mov_b32_e32 v101, v79
	v_pk_add_f32 v[100:101], v[100:101], v[2:3]
	s_mov_b32 s37, s18
	v_pk_add_f32 v[100:101], v[108:109], v[100:101]
	v_pk_mul_f32 v[108:109], v[60:61], s[10:11] op_sel_hi:[1,0]
	v_pk_mul_f32 v[38:39], v[38:39], s[4:5] op_sel_hi:[1,0]
	v_pk_fma_f32 v[110:111], v[58:59], s[20:21], v[108:109] op_sel:[0,0,1] op_sel_hi:[1,0,0] neg_lo:[0,0,1] neg_hi:[0,0,1]
	v_pk_fma_f32 v[108:109], v[58:59], s[20:21], v[108:109] op_sel:[0,0,1] op_sel_hi:[1,0,0]
	v_mov_b32_e32 v112, v110
	v_mov_b32_e32 v113, v109
	v_pk_add_f32 v[100:101], v[112:113], v[100:101]
	v_pk_mul_f32 v[112:113], v[0:1], s[16:17]
	v_mov_b32_e32 v23, v25
	v_pk_fma_f32 v[114:115], v[10:11], s[4:5], v[112:113] op_sel:[1,0,0] neg_lo:[1,0,0] neg_hi:[1,0,0]
	v_pk_fma_f32 v[116:117], v[4:5], s[4:5], v[112:113]
	v_mov_b32_e32 v79, v85
	v_mov_b32_e32 v115, v117
	v_pk_add_f32 v[100:101], v[114:115], v[100:101]
	v_pk_mul_f32 v[114:115], v[8:9], s[36:37]
	v_mov_b32_e32 v105, v107
	v_pk_fma_f32 v[118:119], v[12:13], s[18:19], v[114:115] op_sel:[1,0,0] neg_lo:[1,0,0] neg_hi:[1,0,0]
	v_pk_fma_f32 v[120:121], v[6:7], s[18:19], v[114:115]
	v_mov_b32_e32 v109, v111
	v_mov_b32_e32 v119, v121
	v_pk_add_f32 v[100:101], v[118:119], v[100:101]
	v_pk_fma_f32 v[118:119], v[26:27], s[34:35], v[38:39] op_sel:[0,0,1] op_sel_hi:[1,0,0] neg_lo:[0,0,1] neg_hi:[0,0,1]
	v_pk_fma_f32 v[26:27], v[26:27], s[34:35], v[38:39] op_sel:[0,0,1] op_sel_hi:[1,0,0]
	v_pk_mul_f32 v[38:39], v[56:57], s[28:29] op_sel_hi:[1,0]
	v_mov_b32_e32 v81, v83
	v_pk_fma_f32 v[56:57], v[50:51], s[20:21], v[38:39] op_sel:[0,0,1] op_sel_hi:[1,0,0] neg_lo:[0,0,1] neg_hi:[0,0,1]
	v_pk_fma_f32 v[38:39], v[50:51], s[20:21], v[38:39] op_sel:[0,0,1] op_sel_hi:[1,0,0]
	v_pk_mul_f32 v[50:51], v[60:61], s[0:1] op_sel_hi:[1,0]
	v_mov_b32_e32 v122, v56
	v_pk_fma_f32 v[60:61], v[58:59], s[30:31], v[50:51] op_sel:[0,0,1] op_sel_hi:[1,0,0] neg_lo:[0,0,1] neg_hi:[0,0,1]
	v_pk_fma_f32 v[50:51], v[58:59], s[30:31], v[50:51] op_sel:[0,0,1] op_sel_hi:[1,0,0]
	v_mov_b32_e32 v58, v118
	v_mov_b32_e32 v59, v27
	v_pk_add_f32 v[58:59], v[58:59], v[2:3]
	v_mov_b32_e32 v123, v39
	v_pk_add_f32 v[58:59], v[122:123], v[58:59]
	v_mov_b32_e32 v122, v60
	v_mov_b32_e32 v123, v51
	v_pk_add_f32 v[58:59], v[122:123], v[58:59]
	v_pk_mul_f32 v[122:123], v[0:1], s[36:37]
	v_pk_fma_f32 v[0:1], v[0:1], s[14:15], v[14:15] neg_lo:[1,0,0] neg_hi:[1,0,0]
	v_pk_fma_f32 v[10:11], v[10:11], s[18:19], v[122:123] op_sel:[1,0,0] neg_lo:[1,0,0] neg_hi:[1,0,0]
	v_pk_fma_f32 v[124:125], v[4:5], s[18:19], v[122:123]
	v_pk_add_f32 v[14:15], v[22:23], v[2:3]
	v_mov_b32_e32 v11, v125
	v_pk_add_f32 v[10:11], v[10:11], v[58:59]
	v_pk_mul_f32 v[58:59], v[8:9], s[26:27]
	v_mov_b32_e32 v0, v16
	v_pk_fma_f32 v[12:13], v[12:13], s[22:23], v[58:59] op_sel:[1,0,0] neg_lo:[1,0,0] neg_hi:[1,0,0]
	v_pk_fma_f32 v[126:127], v[6:7], s[22:23], v[58:59]
	v_mov_b32_e32 v27, v119
	v_mov_b32_e32 v13, v127
	v_pk_add_f32 v[10:11], v[12:13], v[10:11]
	ds_write2_b64 v35, v[100:101], v[10:11] offset0:4 offset1:5
	v_pk_fma_f32 v[10:11], v[48:49], s[24:25], v[46:47] neg_lo:[1,0,0] neg_hi:[1,0,0]
	v_pk_fma_f32 v[12:13], v[68:69], s[26:27], v[66:67] neg_lo:[1,0,0] neg_hi:[1,0,0]
	v_mov_b32_e32 v10, v54
	v_mov_b32_e32 v12, v70
	v_pk_add_f32 v[10:11], v[10:11], v[14:15]
	v_mov_b32_e32 v39, v57
	v_pk_add_f32 v[10:11], v[12:13], v[10:11]
	v_pk_fma_f32 v[12:13], v[4:5], s[4:5], v[112:113] neg_lo:[0,0,1] neg_hi:[0,0,1]
	v_pk_add_f32 v[0:1], v[0:1], v[10:11]
	v_pk_fma_f32 v[10:11], v[4:5], s[18:19], v[122:123] neg_lo:[0,0,1] neg_hi:[0,0,1]
	v_mov_b32_e32 v117, v13
	v_mov_b32_e32 v125, v11
	v_pk_fma_f32 v[10:11], v[6:7], s[22:23], v[58:59] neg_lo:[0,0,1] neg_hi:[0,0,1]
	v_pk_fma_f32 v[12:13], v[6:7], s[18:19], v[114:115] neg_lo:[0,0,1] neg_hi:[0,0,1]
	v_mov_b32_e32 v127, v11
	v_pk_add_f32 v[10:11], v[26:27], v[2:3]
	v_mov_b32_e32 v121, v13
	v_pk_add_f32 v[12:13], v[78:79], v[2:3]
	;; [unrolled: 2-line block ×3, first 2 shown]
	v_pk_add_f32 v[12:13], v[104:105], v[12:13]
	v_pk_fma_f32 v[8:9], v[8:9], s[16:17], v[18:19] neg_lo:[1,0,0] neg_hi:[1,0,0]
	v_pk_add_f32 v[10:11], v[50:51], v[10:11]
	v_pk_add_f32 v[12:13], v[108:109], v[12:13]
	v_mov_b32_e32 v8, v20
	v_pk_add_f32 v[10:11], v[124:125], v[10:11]
	v_pk_add_f32 v[12:13], v[116:117], v[12:13]
	;; [unrolled: 1-line block ×5, first 2 shown]
	ds_write2_b64 v35, v[10:11], v[8:9] offset0:6 offset1:7
	v_pk_fma_f32 v[8:9], v[4:5], s[10:11], v[94:95] neg_lo:[0,0,1] neg_hi:[0,0,1]
	v_mov_b32_e32 v43, v41
	v_mov_b32_e32 v99, v9
	v_pk_fma_f32 v[8:9], v[6:7], s[0:1], v[96:97] neg_lo:[0,0,1] neg_hi:[0,0,1]
	v_mov_b32_e32 v87, v89
	v_mov_b32_e32 v103, v9
	v_pk_add_f32 v[8:9], v[80:81], v[2:3]
	v_mov_b32_e32 v37, v45
	v_pk_add_f32 v[2:3], v[42:43], v[2:3]
	;; [unrolled: 2-line block ×3, first 2 shown]
	v_mov_b32_e32 v53, v65
	v_pk_fma_f32 v[4:5], v[4:5], s[12:13], v[74:75] neg_lo:[0,0,1] neg_hi:[0,0,1]
	v_pk_add_f32 v[2:3], v[36:37], v[2:3]
	v_pk_add_f32 v[8:9], v[90:91], v[8:9]
	v_mov_b32_e32 v63, v5
	v_pk_fma_f32 v[4:5], v[6:7], s[28:29], v[76:77] neg_lo:[0,0,1] neg_hi:[0,0,1]
	v_pk_add_f32 v[2:3], v[52:53], v[2:3]
	v_pk_add_f32 v[8:9], v[98:99], v[8:9]
	v_mov_b32_e32 v73, v5
	v_pk_add_f32 v[2:3], v[62:63], v[2:3]
	v_pk_add_f32 v[8:9], v[102:103], v[8:9]
	;; [unrolled: 1-line block ×3, first 2 shown]
	s_movk_i32 s0, 0xffb0
	s_load_dwordx2 s[2:3], s[2:3], 0x0
	ds_write2_b64 v35, v[8:9], v[2:3] offset0:8 offset1:9
	ds_write_b64 v35, v[0:1] offset:80
	v_mad_i32_i24 v2, v34, s0, v35
	v_add_u32_e32 v3, 0x400, v2
	s_waitcnt lgkmcnt(0)
	; wave barrier
	s_waitcnt lgkmcnt(0)
	ds_read2_b64 v[8:11], v2 offset1:55
	ds_read2_b64 v[12:15], v2 offset0:121 offset1:176
	ds_read2_b64 v[20:23], v3 offset0:114 offset1:169
	v_add_u32_e32 v3, 0x800, v2
	v_add_u32_e32 v2, 0xc00, v2
	ds_read2_b64 v[24:27], v3 offset0:107 offset1:162
	ds_read2_b64 v[16:19], v2 offset0:100 offset1:155
	v_mul_i32_i24_e32 v2, 0xffffffb0, v34
	v_cmp_gt_u32_e64 s[0:1], 11, v34
	v_add_u32_e32 v35, v35, v2
                                        ; implicit-def: $vgpr36
                                        ; implicit-def: $vgpr6
	s_and_saveexec_b64 s[4:5], s[0:1]
	s_cbranch_execz .LBB0_15
; %bb.14:
	v_add_u32_e32 v4, 0x800, v35
	ds_read2_b64 v[0:3], v35 offset0:110 offset1:231
	ds_read2_b64 v[4:7], v4 offset0:96 offset1:217
	ds_read_b64 v[36:37], v35 offset:4752
.LBB0_15:
	s_or_b64 exec, exec, s[4:5]
	s_movk_i32 s5, 0x75
	v_mul_lo_u16_sdwa v38, v34, s5 dst_sel:DWORD dst_unused:UNUSED_PAD src0_sel:BYTE_0 src1_sel:DWORD
	v_sub_u16_sdwa v39, v34, v38 dst_sel:DWORD dst_unused:UNUSED_PAD src0_sel:DWORD src1_sel:BYTE_1
	v_lshrrev_b16_e32 v39, 1, v39
	v_and_b32_e32 v39, 0x7f, v39
	v_add_u16_sdwa v38, v39, v38 dst_sel:DWORD dst_unused:UNUSED_PAD src0_sel:DWORD src1_sel:BYTE_1
	v_lshrrev_b16_e32 v54, 3, v38
	v_add_u16_e32 v38, 55, v34
	v_mul_lo_u16_sdwa v39, v38, s5 dst_sel:DWORD dst_unused:UNUSED_PAD src0_sel:BYTE_0 src1_sel:DWORD
	v_sub_u16_sdwa v40, v38, v39 dst_sel:DWORD dst_unused:UNUSED_PAD src0_sel:DWORD src1_sel:BYTE_1
	v_lshrrev_b16_e32 v40, 1, v40
	v_and_b32_e32 v40, 0x7f, v40
	v_add_u16_sdwa v39, v40, v39 dst_sel:DWORD dst_unused:UNUSED_PAD src0_sel:DWORD src1_sel:BYTE_1
	v_lshrrev_b16_e32 v55, 3, v39
	v_mul_lo_u16_e32 v39, 11, v55
	v_mov_b32_e32 v46, 5
	v_sub_u16_e32 v56, v38, v39
	v_lshlrev_b32_sdwa v47, v46, v56 dst_sel:DWORD dst_unused:UNUSED_PAD src0_sel:DWORD src1_sel:BYTE_0
	global_load_dwordx4 v[38:41], v47, s[8:9] offset:16
	global_load_dwordx4 v[42:45], v47, s[8:9]
	v_mul_lo_u16_e32 v47, 11, v54
	v_sub_u16_e32 v57, v34, v47
	v_lshlrev_b32_sdwa v58, v46, v57 dst_sel:DWORD dst_unused:UNUSED_PAD src0_sel:DWORD src1_sel:BYTE_0
	global_load_dwordx4 v[46:49], v58, s[8:9]
	global_load_dwordx4 v[50:53], v58, s[8:9] offset:16
	v_mov_b32_e32 v58, 3
	v_mul_u32_u24_e32 v54, 0x1b8, v54
	v_mul_u32_u24_e32 v55, 0x1b8, v55
	v_lshlrev_b32_sdwa v57, v58, v57 dst_sel:DWORD dst_unused:UNUSED_PAD src0_sel:DWORD src1_sel:BYTE_0
	v_lshlrev_b32_sdwa v56, v58, v56 dst_sel:DWORD dst_unused:UNUSED_PAD src0_sel:DWORD src1_sel:BYTE_0
	v_add3_u32 v61, 0, v54, v57
	v_add3_u32 v72, 0, v55, v56
	s_mov_b32 s10, 0x3f737871
	s_mov_b32 s12, 0x3f167918
	;; [unrolled: 1-line block ×3, first 2 shown]
	s_waitcnt lgkmcnt(0)
	; wave barrier
	s_waitcnt vmcnt(3) lgkmcnt(0)
	v_pk_mul_f32 v[58:59], v[38:39], v[26:27] op_sel:[0,1]
	s_waitcnt vmcnt(2)
	v_pk_mul_f32 v[54:55], v[42:43], v[14:15] op_sel:[0,1]
	v_pk_mul_f32 v[56:57], v[44:45], v[22:23] op_sel:[0,1]
	v_mov_b32_e32 v60, v41
	s_waitcnt vmcnt(1)
	v_pk_mul_f32 v[62:63], v[46:47], v[12:13] op_sel:[0,1]
	v_pk_mul_f32 v[64:65], v[48:49], v[20:21] op_sel:[0,1]
	s_waitcnt vmcnt(0)
	v_pk_mul_f32 v[66:67], v[50:51], v[24:25] op_sel:[0,1]
	v_pk_mul_f32 v[68:69], v[52:53], v[16:17] op_sel:[0,1]
	v_pk_fma_f32 v[70:71], v[42:43], v[14:15], v[54:55] op_sel:[0,0,1] op_sel_hi:[1,1,0] neg_lo:[0,0,1] neg_hi:[0,0,1]
	v_pk_fma_f32 v[14:15], v[42:43], v[14:15], v[54:55] op_sel:[0,0,1] op_sel_hi:[1,0,0]
	v_pk_fma_f32 v[42:43], v[44:45], v[22:23], v[56:57] op_sel:[0,0,1] op_sel_hi:[1,1,0] neg_lo:[0,0,1] neg_hi:[0,0,1]
	v_pk_fma_f32 v[22:23], v[44:45], v[22:23], v[56:57] op_sel:[0,0,1] op_sel_hi:[1,0,0]
	v_pk_fma_f32 v[44:45], v[38:39], v[26:27], v[58:59] op_sel:[0,0,1] op_sel_hi:[1,1,0] neg_lo:[0,0,1] neg_hi:[0,0,1]
	v_pk_fma_f32 v[26:27], v[38:39], v[26:27], v[58:59] op_sel:[0,0,1] op_sel_hi:[1,0,0]
	v_pk_mul_f32 v[38:39], v[18:19], v[60:61] op_sel_hi:[1,0]
	v_pk_fma_f32 v[54:55], v[46:47], v[12:13], v[62:63] op_sel:[0,0,1] op_sel_hi:[1,1,0] neg_lo:[0,0,1] neg_hi:[0,0,1]
	v_pk_fma_f32 v[12:13], v[46:47], v[12:13], v[62:63] op_sel:[0,0,1] op_sel_hi:[1,0,0]
	v_pk_fma_f32 v[46:47], v[48:49], v[20:21], v[64:65] op_sel:[0,0,1] op_sel_hi:[1,1,0] neg_lo:[0,0,1] neg_hi:[0,0,1]
	v_pk_fma_f32 v[20:21], v[48:49], v[20:21], v[64:65] op_sel:[0,0,1] op_sel_hi:[1,0,0]
	;; [unrolled: 2-line block ×4, first 2 shown]
	v_mov_b32_e32 v71, v15
	v_pk_fma_f32 v[14:15], v[18:19], v[40:41], v[38:39] op_sel:[0,0,1] op_sel_hi:[1,1,0] neg_lo:[0,0,1] neg_hi:[0,0,1]
	v_pk_fma_f32 v[18:19], v[18:19], v[40:41], v[38:39] op_sel:[0,0,1] op_sel_hi:[1,0,0]
	v_mov_b32_e32 v55, v13
	v_mov_b32_e32 v47, v21
	;; [unrolled: 1-line block ×5, first 2 shown]
	v_pk_add_f32 v[16:17], v[8:9], v[54:55]
	v_pk_add_f32 v[18:19], v[46:47], v[48:49]
	v_pk_add_f32 v[20:21], v[54:55], v[50:51] neg_lo:[0,1] neg_hi:[0,1]
	v_mov_b32_e32 v43, v23
	v_pk_add_f32 v[22:23], v[46:47], v[48:49] neg_lo:[0,1] neg_hi:[0,1]
	v_pk_add_f32 v[24:25], v[54:55], v[46:47] neg_lo:[0,1] neg_hi:[0,1]
	v_pk_add_f32 v[38:39], v[54:55], v[50:51]
	v_pk_add_f32 v[40:41], v[46:47], v[54:55] neg_lo:[0,1] neg_hi:[0,1]
	v_pk_add_f32 v[16:17], v[16:17], v[46:47]
	v_pk_fma_f32 v[18:19], v[18:19], 0.5, v[8:9] op_sel_hi:[1,0,1] neg_lo:[1,0,0] neg_hi:[1,0,0]
	v_pk_mul_f32 v[46:47], v[20:21], s[10:11] op_sel_hi:[1,0]
	v_pk_mul_f32 v[54:55], v[22:23], s[12:13] op_sel_hi:[1,0]
	v_pk_fma_f32 v[8:9], v[38:39], 0.5, v[8:9] op_sel_hi:[1,0,1] neg_lo:[1,0,0] neg_hi:[1,0,0]
	v_pk_add_f32 v[38:39], v[18:19], v[46:47] op_sel:[0,1] op_sel_hi:[1,0]
	v_pk_add_f32 v[18:19], v[18:19], v[46:47] op_sel:[0,1] op_sel_hi:[1,0] neg_lo:[0,1] neg_hi:[0,1]
	v_mov_b32_e32 v45, v27
	v_pk_add_f32 v[26:27], v[50:51], v[48:49] neg_lo:[0,1] neg_hi:[0,1]
	v_pk_add_f32 v[52:53], v[48:49], v[50:51] neg_lo:[0,1] neg_hi:[0,1]
	v_pk_add_f32 v[18:19], v[18:19], v[54:55] op_sel:[0,1] op_sel_hi:[1,0] neg_lo:[0,1] neg_hi:[0,1]
	v_pk_add_f32 v[38:39], v[38:39], v[54:55] op_sel:[0,1] op_sel_hi:[1,0]
	v_pk_add_f32 v[24:25], v[24:25], v[26:27]
	v_pk_add_f32 v[26:27], v[40:41], v[52:53]
	;; [unrolled: 1-line block ×3, first 2 shown]
	v_mov_b32_e32 v40, v38
	v_mov_b32_e32 v41, v19
	v_pk_add_f32 v[16:17], v[16:17], v[50:51]
	v_pk_fma_f32 v[40:41], v[24:25], s[4:5], v[40:41] op_sel_hi:[1,0,1]
	ds_write2_b64 v61, v[16:17], v[40:41] offset1:11
	v_pk_mul_f32 v[16:17], v[22:23], s[10:11] op_sel_hi:[1,0]
	v_pk_mul_f32 v[20:21], v[20:21], s[12:13] op_sel_hi:[1,0]
	v_pk_add_f32 v[22:23], v[8:9], v[16:17] op_sel:[0,1] op_sel_hi:[1,0] neg_lo:[0,1] neg_hi:[0,1]
	v_pk_add_f32 v[8:9], v[8:9], v[16:17] op_sel:[0,1] op_sel_hi:[1,0]
	v_pk_add_f32 v[16:17], v[22:23], v[20:21] op_sel:[0,1] op_sel_hi:[1,0]
	v_pk_add_f32 v[8:9], v[8:9], v[20:21] op_sel:[0,1] op_sel_hi:[1,0] neg_lo:[0,1] neg_hi:[0,1]
	v_mov_b32_e32 v20, v16
	v_mov_b32_e32 v21, v9
	;; [unrolled: 1-line block ×3, first 2 shown]
	v_pk_fma_f32 v[20:21], v[26:27], s[4:5], v[20:21] op_sel_hi:[1,0,1]
	v_pk_fma_f32 v[8:9], v[26:27], s[4:5], v[8:9] op_sel_hi:[1,0,1]
	v_mov_b32_e32 v19, v39
	ds_write2_b64 v61, v[20:21], v[8:9] offset0:22 offset1:33
	v_pk_fma_f32 v[8:9], v[24:25], s[4:5], v[18:19] op_sel_hi:[1,0,1]
	ds_write_b64 v61, v[8:9] offset:352
	v_pk_add_f32 v[8:9], v[42:43], v[44:45]
	v_pk_add_f32 v[16:17], v[70:71], v[14:15] neg_lo:[0,1] neg_hi:[0,1]
	v_pk_fma_f32 v[8:9], v[8:9], 0.5, v[10:11] op_sel_hi:[1,0,1] neg_lo:[1,0,0] neg_hi:[1,0,0]
	v_pk_mul_f32 v[18:19], v[16:17], s[10:11] op_sel_hi:[1,0]
	v_pk_add_f32 v[20:21], v[42:43], v[44:45] neg_lo:[0,1] neg_hi:[0,1]
	v_pk_add_f32 v[24:25], v[70:71], v[42:43] neg_lo:[0,1] neg_hi:[0,1]
	;; [unrolled: 1-line block ×3, first 2 shown]
	v_pk_add_f32 v[12:13], v[10:11], v[70:71]
	v_pk_mul_f32 v[22:23], v[20:21], s[12:13] op_sel_hi:[1,0]
	v_pk_add_f32 v[24:25], v[24:25], v[26:27]
	v_pk_add_f32 v[26:27], v[8:9], v[18:19] op_sel:[0,1] op_sel_hi:[1,0]
	v_pk_add_f32 v[8:9], v[8:9], v[18:19] op_sel:[0,1] op_sel_hi:[1,0] neg_lo:[0,1] neg_hi:[0,1]
	v_pk_add_f32 v[12:13], v[12:13], v[42:43]
	v_pk_add_f32 v[8:9], v[8:9], v[22:23] op_sel:[0,1] op_sel_hi:[1,0] neg_lo:[0,1] neg_hi:[0,1]
	v_pk_add_f32 v[18:19], v[26:27], v[22:23] op_sel:[0,1] op_sel_hi:[1,0]
	v_pk_add_f32 v[12:13], v[12:13], v[44:45]
	v_mov_b32_e32 v22, v18
	v_mov_b32_e32 v23, v9
	v_pk_add_f32 v[12:13], v[12:13], v[14:15]
	v_pk_fma_f32 v[22:23], v[24:25], s[4:5], v[22:23] op_sel_hi:[1,0,1]
	ds_write2_b64 v72, v[12:13], v[22:23] offset1:11
	v_pk_add_f32 v[12:13], v[70:71], v[14:15]
	v_pk_add_f32 v[14:15], v[44:45], v[14:15] neg_lo:[0,1] neg_hi:[0,1]
	v_pk_fma_f32 v[10:11], v[12:13], 0.5, v[10:11] op_sel_hi:[1,0,1] neg_lo:[1,0,0] neg_hi:[1,0,0]
	v_pk_add_f32 v[12:13], v[42:43], v[70:71] neg_lo:[0,1] neg_hi:[0,1]
	v_pk_mul_f32 v[16:17], v[16:17], s[12:13] op_sel_hi:[1,0]
	v_pk_add_f32 v[12:13], v[12:13], v[14:15]
	v_pk_mul_f32 v[14:15], v[20:21], s[10:11] op_sel_hi:[1,0]
	v_mov_b32_e32 v9, v19
	v_pk_add_f32 v[20:21], v[10:11], v[14:15] op_sel:[0,1] op_sel_hi:[1,0] neg_lo:[0,1] neg_hi:[0,1]
	v_pk_add_f32 v[10:11], v[10:11], v[14:15] op_sel:[0,1] op_sel_hi:[1,0]
	v_pk_add_f32 v[14:15], v[20:21], v[16:17] op_sel:[0,1] op_sel_hi:[1,0]
	v_pk_add_f32 v[10:11], v[10:11], v[16:17] op_sel:[0,1] op_sel_hi:[1,0] neg_lo:[0,1] neg_hi:[0,1]
	v_mov_b32_e32 v16, v14
	v_mov_b32_e32 v17, v11
	;; [unrolled: 1-line block ×3, first 2 shown]
	v_pk_fma_f32 v[16:17], v[12:13], s[4:5], v[16:17] op_sel_hi:[1,0,1]
	v_pk_fma_f32 v[10:11], v[12:13], s[4:5], v[10:11] op_sel_hi:[1,0,1]
	;; [unrolled: 1-line block ×3, first 2 shown]
	ds_write2_b64 v72, v[16:17], v[10:11] offset0:22 offset1:33
	ds_write_b64 v72, v[8:9] offset:352
	s_and_saveexec_b64 s[14:15], s[0:1]
	s_cbranch_execz .LBB0_17
; %bb.16:
	v_add_u16_e32 v8, 0x6e, v34
	v_mul_lo_u16_sdwa v9, v8, s5 dst_sel:DWORD dst_unused:UNUSED_PAD src0_sel:BYTE_0 src1_sel:DWORD
	v_sub_u16_sdwa v10, v8, v9 dst_sel:DWORD dst_unused:UNUSED_PAD src0_sel:DWORD src1_sel:BYTE_1
	v_lshrrev_b16_e32 v10, 1, v10
	v_and_b32_e32 v10, 0x7f, v10
	v_add_u16_sdwa v9, v10, v9 dst_sel:DWORD dst_unused:UNUSED_PAD src0_sel:DWORD src1_sel:BYTE_1
	v_lshrrev_b16_e32 v9, 3, v9
	v_mul_lo_u16_e32 v9, 11, v9
	v_sub_u16_e32 v8, v8, v9
	v_and_b32_e32 v17, 0xff, v8
	v_lshlrev_b32_e32 v16, 5, v17
	global_load_dwordx4 v[8:11], v16, s[8:9]
	global_load_dwordx4 v[12:15], v16, s[8:9] offset:16
	v_mov_b32_e32 v16, v5
	v_mov_b32_e32 v18, v3
	v_mov_b32_e32 v20, v7
	v_mov_b32_e32 v22, v37
	v_lshl_add_u32 v37, v17, 3, 0
	v_add_u32_e32 v38, 0x1000, v37
	s_waitcnt vmcnt(1)
	v_pk_mul_f32 v[16:17], v[16:17], v[10:11] op_sel_hi:[0,1]
	v_pk_mul_f32 v[18:19], v[18:19], v[8:9] op_sel_hi:[0,1]
	s_waitcnt vmcnt(0)
	v_pk_mul_f32 v[20:21], v[20:21], v[12:13] op_sel_hi:[0,1]
	v_pk_mul_f32 v[22:23], v[22:23], v[14:15] op_sel_hi:[0,1]
	v_pk_fma_f32 v[24:25], v[2:3], v[8:9], v[18:19] op_sel:[0,0,1] op_sel_hi:[1,1,0] neg_lo:[0,0,1] neg_hi:[0,0,1]
	v_pk_fma_f32 v[2:3], v[2:3], v[8:9], v[18:19] op_sel:[0,0,1] op_sel_hi:[0,1,0]
	v_pk_fma_f32 v[8:9], v[4:5], v[10:11], v[16:17] op_sel:[0,0,1] op_sel_hi:[1,1,0] neg_lo:[0,0,1] neg_hi:[0,0,1]
	v_pk_fma_f32 v[4:5], v[4:5], v[10:11], v[16:17] op_sel:[0,0,1] op_sel_hi:[0,1,0]
	;; [unrolled: 2-line block ×4, first 2 shown]
	v_mov_b32_e32 v25, v3
	v_mov_b32_e32 v9, v5
	v_mov_b32_e32 v11, v15
	v_mov_b32_e32 v17, v7
	v_pk_add_f32 v[2:3], v[0:1], v[24:25]
	v_pk_add_f32 v[4:5], v[24:25], v[10:11] neg_lo:[0,1] neg_hi:[0,1]
	v_pk_add_f32 v[12:13], v[8:9], v[16:17]
	v_pk_add_f32 v[6:7], v[8:9], v[16:17] neg_lo:[0,1] neg_hi:[0,1]
	v_pk_add_f32 v[14:15], v[24:25], v[8:9] neg_lo:[0,1] neg_hi:[0,1]
	;; [unrolled: 1-line block ×3, first 2 shown]
	v_pk_add_f32 v[24:25], v[24:25], v[10:11]
	v_pk_add_f32 v[2:3], v[2:3], v[8:9]
	v_pk_fma_f32 v[8:9], v[12:13], 0.5, v[0:1] op_sel_hi:[1,0,1] neg_lo:[1,0,0] neg_hi:[1,0,0]
	v_pk_mul_f32 v[12:13], v[4:5], s[10:11] op_sel_hi:[1,0]
	v_pk_add_f32 v[18:19], v[10:11], v[16:17] neg_lo:[0,1] neg_hi:[0,1]
	v_pk_add_f32 v[22:23], v[16:17], v[10:11] neg_lo:[0,1] neg_hi:[0,1]
	v_pk_mul_f32 v[26:27], v[6:7], s[12:13] op_sel_hi:[1,0]
	v_pk_fma_f32 v[0:1], v[24:25], 0.5, v[0:1] op_sel_hi:[1,0,1] neg_lo:[1,0,0] neg_hi:[1,0,0]
	v_pk_mul_f32 v[6:7], v[6:7], s[10:11] op_sel_hi:[1,0]
	v_pk_add_f32 v[2:3], v[2:3], v[16:17]
	v_pk_add_f32 v[16:17], v[8:9], v[12:13] op_sel:[0,1] op_sel_hi:[1,0]
	v_pk_add_f32 v[8:9], v[8:9], v[12:13] op_sel:[0,1] op_sel_hi:[1,0] neg_lo:[0,1] neg_hi:[0,1]
	v_pk_mul_f32 v[4:5], v[4:5], s[12:13] op_sel_hi:[1,0]
	v_pk_add_f32 v[12:13], v[0:1], v[6:7] op_sel:[0,1] op_sel_hi:[1,0] neg_lo:[0,1] neg_hi:[0,1]
	v_pk_add_f32 v[0:1], v[0:1], v[6:7] op_sel:[0,1] op_sel_hi:[1,0]
	v_pk_add_f32 v[6:7], v[8:9], v[26:27] op_sel:[0,1] op_sel_hi:[1,0] neg_lo:[0,1] neg_hi:[0,1]
	v_pk_add_f32 v[8:9], v[16:17], v[26:27] op_sel:[0,1] op_sel_hi:[1,0]
	v_pk_add_f32 v[14:15], v[14:15], v[18:19]
	v_pk_add_f32 v[2:3], v[2:3], v[10:11]
	v_pk_add_f32 v[0:1], v[0:1], v[4:5] op_sel:[0,1] op_sel_hi:[1,0] neg_lo:[0,1] neg_hi:[0,1]
	v_pk_add_f32 v[4:5], v[12:13], v[4:5] op_sel:[0,1] op_sel_hi:[1,0]
	v_mov_b32_e32 v10, v8
	v_mov_b32_e32 v11, v7
	v_pk_add_f32 v[18:19], v[20:21], v[22:23]
	v_mov_b32_e32 v12, v4
	v_mov_b32_e32 v13, v1
	v_mov_b32_e32 v1, v5
	v_mov_b32_e32 v7, v9
	v_pk_fma_f32 v[4:5], v[14:15], s[4:5], v[10:11] op_sel_hi:[1,0,1]
	v_pk_fma_f32 v[8:9], v[18:19], s[4:5], v[12:13] op_sel_hi:[1,0,1]
	;; [unrolled: 1-line block ×4, first 2 shown]
	ds_write2_b64 v38, v[2:3], v[4:5] offset0:38 offset1:49
	ds_write2_b64 v38, v[8:9], v[0:1] offset0:60 offset1:71
	ds_write_b64 v37, v[6:7] offset:4752
.LBB0_17:
	s_or_b64 exec, exec, s[14:15]
	s_waitcnt lgkmcnt(0)
	; wave barrier
	s_waitcnt lgkmcnt(0)
	s_and_saveexec_b64 s[0:1], vcc
	s_cbranch_execz .LBB0_19
; %bb.18:
	v_mul_u32_u24_e32 v0, 10, v34
	v_lshlrev_b32_e32 v0, 3, v0
	global_load_dwordx4 v[6:9], v0, s[8:9] offset:352
	global_load_dwordx4 v[10:13], v0, s[8:9] offset:416
	;; [unrolled: 1-line block ×5, first 2 shown]
	v_mul_lo_u32 v26, s3, v30
	v_mul_lo_u32 v27, s2, v31
	v_mad_u64_u32 v[4:5], s[0:1], s2, v30, 0
	ds_read2_b64 v[0:3], v35 offset1:55
	v_add_u32_e32 v30, 0xc00, v35
	v_lshl_add_u32 v31, v34, 3, 0
	ds_read2_b64 v[36:39], v35 offset0:165 offset1:220
	v_add_u32_e32 v34, 0x800, v35
	v_add3_u32 v5, v5, v27, v26
	ds_read2_b64 v[40:43], v30 offset0:111 offset1:166
	ds_read_b64 v[26:27], v31 offset:880
	ds_read2_b64 v[44:47], v34 offset0:129 offset1:184
	ds_read2_b64 v[48:51], v34 offset0:19 offset1:74
	v_lshl_add_u64 v[4:5], v[4:5], 3, s[6:7]
	v_lshl_add_u64 v[4:5], v[28:29], 3, v[4:5]
	v_lshl_add_u64 v[4:5], v[32:33], 3, v[4:5]
	s_mov_b32 s10, 0x3f575c64
	s_mov_b32 s11, 0xbf0a6770
	;; [unrolled: 1-line block ×32, first 2 shown]
	s_waitcnt vmcnt(4) lgkmcnt(5)
	v_mul_f32_e32 v28, v7, v3
	v_mul_f32_e32 v29, v6, v3
	s_waitcnt vmcnt(3) lgkmcnt(3)
	v_pk_mul_f32 v[30:31], v[12:13], v[42:43] op_sel:[0,1]
	v_pk_mul_f32 v[32:33], v[10:11], v[40:41] op_sel:[0,1]
	s_waitcnt lgkmcnt(2)
	v_pk_mul_f32 v[34:35], v[8:9], v[26:27] op_sel:[0,1]
	s_waitcnt vmcnt(2) lgkmcnt(1)
	v_pk_mul_f32 v[56:57], v[14:15], v[44:45] op_sel:[0,1]
	v_pk_mul_f32 v[52:53], v[16:17], v[46:47] op_sel:[0,1]
	s_waitcnt vmcnt(1)
	v_pk_mul_f32 v[54:55], v[18:19], v[36:37] op_sel:[0,1]
	v_fma_f32 v28, v6, v2, -v28
	v_fmac_f32_e32 v29, v7, v2
	v_pk_fma_f32 v[64:65], v[42:43], v[12:13], v[30:31] op_sel:[0,0,1] op_sel_hi:[0,1,0] neg_lo:[0,0,1] neg_hi:[0,0,1]
	v_pk_fma_f32 v[6:7], v[42:43], v[12:13], v[30:31] op_sel:[0,0,1] op_sel_hi:[0,1,0]
	v_pk_fma_f32 v[30:31], v[40:41], v[10:11], v[32:33] op_sel:[0,0,1] op_sel_hi:[1,1,0] neg_lo:[0,0,1] neg_hi:[0,0,1]
	v_pk_fma_f32 v[10:11], v[40:41], v[10:11], v[32:33] op_sel:[0,0,1] op_sel_hi:[0,1,0]
	;; [unrolled: 2-line block ×4, first 2 shown]
	v_pk_mul_f32 v[58:59], v[20:21], v[38:39] op_sel:[0,1]
	v_pk_fma_f32 v[26:27], v[46:47], v[16:17], v[52:53] op_sel:[0,0,1] op_sel_hi:[1,1,0] neg_lo:[0,0,1] neg_hi:[0,0,1]
	v_pk_fma_f32 v[12:13], v[46:47], v[16:17], v[52:53] op_sel:[0,0,1] op_sel_hi:[0,1,0]
	v_pk_fma_f32 v[16:17], v[18:19], v[36:37], v[54:55] op_sel:[0,0,1] op_sel_hi:[1,1,0] neg_lo:[0,0,1] neg_hi:[0,0,1]
	v_pk_fma_f32 v[18:19], v[18:19], v[36:37], v[54:55] op_sel:[0,0,1] op_sel_hi:[1,0,0]
	v_mov_b32_e32 v33, v9
	v_mov_b32_e32 v35, v15
	v_pk_add_f32 v[14:15], v[28:29], v[0:1]
	s_waitcnt vmcnt(0) lgkmcnt(0)
	v_pk_mul_f32 v[62:63], v[22:23], v[48:49] op_sel:[0,1]
	v_pk_fma_f32 v[36:37], v[20:21], v[38:39], v[58:59] op_sel:[0,0,1] op_sel_hi:[1,1,0] neg_lo:[0,0,1] neg_hi:[0,0,1]
	v_pk_fma_f32 v[20:21], v[20:21], v[38:39], v[58:59] op_sel:[0,0,1] op_sel_hi:[1,0,0]
	v_mov_b32_e32 v17, v19
	v_pk_add_f32 v[18:19], v[14:15], v[32:33]
	v_pk_mul_f32 v[60:61], v[24:25], v[50:51] op_sel:[0,1]
	v_pk_fma_f32 v[40:41], v[22:23], v[48:49], v[62:63] op_sel:[0,0,1] op_sel_hi:[1,1,0] neg_lo:[0,0,1] neg_hi:[0,0,1]
	v_pk_fma_f32 v[22:23], v[22:23], v[48:49], v[62:63] op_sel:[0,0,1] op_sel_hi:[1,0,0]
	v_mov_b32_e32 v37, v21
	v_pk_add_f32 v[18:19], v[18:19], v[16:17]
	v_pk_fma_f32 v[38:39], v[50:51], v[24:25], v[60:61] op_sel:[0,0,1] op_sel_hi:[1,1,0] neg_lo:[0,0,1] neg_hi:[0,0,1]
	v_pk_fma_f32 v[24:25], v[50:51], v[24:25], v[60:61] op_sel:[0,0,1] op_sel_hi:[0,1,0]
	v_mov_b32_e32 v41, v23
	v_pk_add_f32 v[18:19], v[18:19], v[36:37]
	v_mov_b32_e32 v39, v25
	v_pk_add_f32 v[18:19], v[18:19], v[40:41]
	;; [unrolled: 2-line block ×5, first 2 shown]
	v_sub_f32_e32 v43, v28, v64
	v_add_f32_e32 v42, v28, v64
	v_pk_add_f32 v[20:21], v[32:33], v[30:31] neg_lo:[0,1] neg_hi:[0,1]
	v_pk_add_f32 v[12:13], v[32:33], v[30:31]
	v_pk_add_f32 v[18:19], v[30:31], v[18:19]
	v_add_f32_e32 v3, v29, v7
	v_sub_f32_e32 v2, v29, v7
	v_pk_mul_f32 v[14:15], v[42:43], s[10:11]
	v_pk_add_f32 v[18:19], v[64:65], v[18:19]
	v_mov_b32_e32 v32, v12
	v_mov_b32_e32 v33, v20
	v_pk_add_f32 v[24:25], v[16:17], v[26:27] neg_lo:[0,1] neg_hi:[0,1]
	v_pk_add_f32 v[10:11], v[16:17], v[26:27]
	v_pk_fma_f32 v[22:23], v[2:3], s[0:1], v[14:15] neg_lo:[1,0,0] neg_hi:[1,0,0]
	v_pk_fma_f32 v[16:17], v[2:3], s[0:1], v[14:15]
	global_store_dwordx2 v[4:5], v[18:19], off
	v_pk_mul_f32 v[18:19], v[32:33], s[14:15]
	v_mov_b32_e32 v12, v21
	v_mov_b32_e32 v23, v17
	v_pk_fma_f32 v[26:27], v[12:13], s[2:3], v[18:19] neg_lo:[1,0,0] neg_hi:[1,0,0]
	v_pk_fma_f32 v[20:21], v[12:13], s[2:3], v[18:19]
	v_pk_add_f32 v[28:29], v[36:37], v[34:35] neg_lo:[0,1] neg_hi:[0,1]
	v_pk_add_f32 v[8:9], v[36:37], v[34:35]
	v_pk_add_f32 v[22:23], v[22:23], v[0:1]
	v_mov_b32_e32 v27, v21
	v_mov_b32_e32 v34, v10
	;; [unrolled: 1-line block ×3, first 2 shown]
	v_pk_add_f32 v[26:27], v[22:23], v[26:27]
	v_pk_mul_f32 v[22:23], v[34:35], s[18:19]
	v_mov_b32_e32 v10, v25
	v_pk_fma_f32 v[30:31], v[10:11], s[4:5], v[22:23] neg_lo:[1,0,0] neg_hi:[1,0,0]
	v_pk_fma_f32 v[24:25], v[10:11], s[4:5], v[22:23]
	v_mov_b32_e32 v36, v8
	v_mov_b32_e32 v31, v25
	v_mov_b32_e32 v37, v28
	v_pk_add_f32 v[30:31], v[26:27], v[30:31]
	v_pk_mul_f32 v[26:27], v[36:37], s[22:23]
	v_mov_b32_e32 v8, v29
	v_pk_add_f32 v[44:45], v[40:41], v[38:39] neg_lo:[0,1] neg_hi:[0,1]
	v_pk_add_f32 v[6:7], v[40:41], v[38:39]
	v_pk_fma_f32 v[38:39], v[8:9], s[6:7], v[26:27] neg_lo:[1,0,0] neg_hi:[1,0,0]
	v_pk_fma_f32 v[28:29], v[8:9], s[6:7], v[26:27]
	v_mov_b32_e32 v40, v6
	v_mov_b32_e32 v39, v29
	;; [unrolled: 1-line block ×3, first 2 shown]
	v_pk_add_f32 v[38:39], v[30:31], v[38:39]
	v_pk_mul_f32 v[30:31], v[40:41], s[26:27]
	v_mov_b32_e32 v6, v45
	v_pk_fma_f32 v[44:45], v[6:7], s[8:9], v[30:31] neg_lo:[1,0,0] neg_hi:[1,0,0]
	v_pk_fma_f32 v[46:47], v[6:7], s[8:9], v[30:31]
	v_pk_mul_f32 v[50:51], v[32:33], s[22:23]
	v_mov_b32_e32 v45, v47
	v_pk_add_f32 v[38:39], v[38:39], v[44:45]
	global_store_dwordx2 v[4:5], v[38:39], off offset:440
	v_pk_mul_f32 v[38:39], v[42:43], s[14:15]
	v_pk_fma_f32 v[52:53], v[12:13], s[6:7], v[50:51] neg_lo:[1,0,0] neg_hi:[1,0,0]
	v_pk_fma_f32 v[44:45], v[2:3], s[2:3], v[38:39] neg_lo:[1,0,0] neg_hi:[1,0,0]
	v_pk_fma_f32 v[48:49], v[2:3], s[2:3], v[38:39]
	v_pk_fma_f32 v[54:55], v[12:13], s[6:7], v[50:51]
	v_mov_b32_e32 v45, v49
	v_pk_add_f32 v[44:45], v[44:45], v[0:1]
	v_mov_b32_e32 v53, v55
	v_pk_add_f32 v[44:45], v[44:45], v[52:53]
	v_pk_mul_f32 v[52:53], v[34:35], s[24:25]
	v_pk_mul_f32 v[70:71], v[32:33], s[24:25]
	v_pk_fma_f32 v[56:57], v[10:11], s[12:13], v[52:53] neg_lo:[1,0,0] neg_hi:[1,0,0]
	v_pk_fma_f32 v[58:59], v[10:11], s[12:13], v[52:53]
	v_pk_fma_f32 v[72:73], v[12:13], s[12:13], v[70:71] neg_lo:[1,0,0] neg_hi:[1,0,0]
	v_mov_b32_e32 v57, v59
	v_pk_add_f32 v[44:45], v[44:45], v[56:57]
	v_pk_mul_f32 v[56:57], v[36:37], s[28:29]
	v_pk_fma_f32 v[74:75], v[12:13], s[12:13], v[70:71]
	v_pk_fma_f32 v[60:61], v[8:9], s[16:17], v[56:57] neg_lo:[1,0,0] neg_hi:[1,0,0]
	v_pk_fma_f32 v[62:63], v[8:9], s[16:17], v[56:57]
	v_mov_b32_e32 v73, v75
	v_mov_b32_e32 v61, v63
	v_pk_add_f32 v[44:45], v[44:45], v[60:61]
	v_pk_mul_f32 v[60:61], v[40:41], s[30:31]
	s_mov_b32 s15, 0x3f68dda4
	v_pk_fma_f32 v[64:65], v[6:7], s[20:21], v[60:61] neg_lo:[1,0,0] neg_hi:[1,0,0]
	v_pk_fma_f32 v[66:67], v[6:7], s[20:21], v[60:61]
	s_mov_b32 s24, s15
	v_mov_b32_e32 v65, v67
	v_pk_add_f32 v[44:45], v[44:45], v[64:65]
	global_store_dwordx2 v[4:5], v[44:45], off offset:880
	v_pk_mul_f32 v[44:45], v[42:43], s[18:19]
	s_mov_b32 s25, s14
	v_pk_fma_f32 v[64:65], v[2:3], s[4:5], v[44:45] neg_lo:[1,0,0] neg_hi:[1,0,0]
	v_pk_fma_f32 v[68:69], v[2:3], s[4:5], v[44:45]
	v_pk_mul_f32 v[90:91], v[32:33], s[28:29]
	v_mov_b32_e32 v65, v69
	v_pk_add_f32 v[64:65], v[64:65], v[0:1]
	v_pk_fma_f32 v[92:93], v[12:13], s[16:17], v[90:91] neg_lo:[1,0,0] neg_hi:[1,0,0]
	v_pk_add_f32 v[64:65], v[64:65], v[72:73]
	v_pk_mul_f32 v[72:73], v[34:35], s[14:15]
	v_pk_fma_f32 v[94:95], v[12:13], s[16:17], v[90:91]
	v_pk_fma_f32 v[76:77], v[10:11], s[24:25], v[72:73] neg_lo:[1,0,0] neg_hi:[1,0,0]
	v_pk_fma_f32 v[78:79], v[10:11], s[24:25], v[72:73]
	v_mov_b32_e32 v93, v95
	v_mov_b32_e32 v77, v79
	v_pk_add_f32 v[64:65], v[64:65], v[76:77]
	v_pk_mul_f32 v[76:77], v[36:37], s[10:11]
	v_pk_mul_f32 v[32:33], v[32:33], s[30:31]
	v_pk_fma_f32 v[80:81], v[8:9], s[0:1], v[76:77] neg_lo:[1,0,0] neg_hi:[1,0,0]
	v_pk_fma_f32 v[82:83], v[8:9], s[0:1], v[76:77]
	v_pk_fma_f32 v[108:109], v[12:13], s[20:21], v[32:33] neg_lo:[1,0,0] neg_hi:[1,0,0]
	v_mov_b32_e32 v81, v83
	v_pk_add_f32 v[64:65], v[64:65], v[80:81]
	v_pk_mul_f32 v[80:81], v[40:41], s[22:23]
	v_pk_fma_f32 v[110:111], v[12:13], s[20:21], v[32:33]
	v_pk_fma_f32 v[84:85], v[6:7], s[6:7], v[80:81] neg_lo:[1,0,0] neg_hi:[1,0,0]
	v_pk_fma_f32 v[86:87], v[6:7], s[6:7], v[80:81]
	v_mov_b32_e32 v109, v111
	v_mov_b32_e32 v85, v87
	v_pk_add_f32 v[64:65], v[64:65], v[84:85]
	global_store_dwordx2 v[4:5], v[64:65], off offset:1320
	v_pk_mul_f32 v[64:65], v[42:43], s[22:23]
	v_pk_mul_f32 v[42:43], v[42:43], s[26:27]
	v_pk_fma_f32 v[84:85], v[2:3], s[6:7], v[64:65] neg_lo:[1,0,0] neg_hi:[1,0,0]
	v_pk_fma_f32 v[88:89], v[2:3], s[6:7], v[64:65]
	v_pk_fma_f32 v[32:33], v[12:13], s[20:21], v[32:33] neg_lo:[0,0,1] neg_hi:[0,0,1]
	v_mov_b32_e32 v85, v89
	v_pk_add_f32 v[84:85], v[84:85], v[0:1]
	v_mov_b32_e32 v111, v33
	v_pk_add_f32 v[84:85], v[84:85], v[92:93]
	v_pk_mul_f32 v[92:93], v[34:35], s[10:11]
	v_pk_mul_f32 v[34:35], v[34:35], s[22:23]
	v_pk_fma_f32 v[96:97], v[10:11], s[0:1], v[92:93] neg_lo:[1,0,0] neg_hi:[1,0,0]
	v_pk_fma_f32 v[98:99], v[10:11], s[0:1], v[92:93]
	v_pk_fma_f32 v[112:113], v[10:11], s[6:7], v[34:35]
	v_mov_b32_e32 v97, v99
	v_pk_add_f32 v[84:85], v[84:85], v[96:97]
	v_pk_mul_f32 v[96:97], v[36:37], s[26:27]
	v_pk_mul_f32 v[36:37], v[36:37], s[14:15]
	v_pk_fma_f32 v[100:101], v[8:9], s[8:9], v[96:97] neg_lo:[1,0,0] neg_hi:[1,0,0]
	v_pk_fma_f32 v[102:103], v[8:9], s[8:9], v[96:97]
	v_pk_fma_f32 v[114:115], v[8:9], s[24:25], v[36:37]
	v_mov_b32_e32 v101, v103
	v_pk_add_f32 v[84:85], v[84:85], v[100:101]
	v_pk_mul_f32 v[100:101], v[40:41], s[14:15]
	v_pk_mul_f32 v[40:41], v[40:41], s[18:19]
	v_pk_fma_f32 v[104:105], v[6:7], s[24:25], v[100:101] neg_lo:[1,0,0] neg_hi:[1,0,0]
	v_pk_fma_f32 v[106:107], v[6:7], s[24:25], v[100:101]
	v_pk_fma_f32 v[116:117], v[6:7], s[4:5], v[40:41]
	v_mov_b32_e32 v105, v107
	v_pk_add_f32 v[84:85], v[84:85], v[104:105]
	global_store_dwordx2 v[4:5], v[84:85], off offset:1760
	v_pk_fma_f32 v[84:85], v[2:3], s[8:9], v[42:43] neg_lo:[1,0,0] neg_hi:[1,0,0]
	v_pk_fma_f32 v[104:105], v[2:3], s[8:9], v[42:43]
	v_pk_fma_f32 v[42:43], v[2:3], s[8:9], v[42:43] neg_lo:[0,0,1] neg_hi:[0,0,1]
	v_mov_b32_e32 v85, v105
	v_pk_add_f32 v[84:85], v[84:85], v[0:1]
	v_mov_b32_e32 v105, v43
	v_pk_add_f32 v[84:85], v[84:85], v[108:109]
	v_pk_fma_f32 v[108:109], v[10:11], s[6:7], v[34:35] neg_lo:[1,0,0] neg_hi:[1,0,0]
	v_pk_add_f32 v[32:33], v[104:105], v[0:1]
	v_mov_b32_e32 v109, v113
	v_pk_add_f32 v[84:85], v[84:85], v[108:109]
	v_pk_fma_f32 v[108:109], v[8:9], s[24:25], v[36:37] neg_lo:[1,0,0] neg_hi:[1,0,0]
	v_pk_fma_f32 v[34:35], v[10:11], s[6:7], v[34:35] neg_lo:[0,0,1] neg_hi:[0,0,1]
	v_mov_b32_e32 v109, v115
	v_pk_add_f32 v[32:33], v[32:33], v[110:111]
	v_mov_b32_e32 v113, v35
	v_pk_fma_f32 v[34:35], v[8:9], s[24:25], v[36:37] neg_lo:[0,0,1] neg_hi:[0,0,1]
	v_pk_add_f32 v[84:85], v[84:85], v[108:109]
	v_pk_fma_f32 v[108:109], v[6:7], s[4:5], v[40:41] neg_lo:[1,0,0] neg_hi:[1,0,0]
	v_pk_add_f32 v[32:33], v[32:33], v[112:113]
	v_mov_b32_e32 v115, v35
	v_pk_fma_f32 v[34:35], v[6:7], s[4:5], v[40:41] neg_lo:[0,0,1] neg_hi:[0,0,1]
	v_mov_b32_e32 v109, v117
	v_pk_add_f32 v[32:33], v[32:33], v[114:115]
	v_mov_b32_e32 v117, v35
	v_pk_add_f32 v[32:33], v[32:33], v[116:117]
	global_store_dwordx2 v[4:5], v[32:33], off offset:2640
	v_pk_fma_f32 v[32:33], v[2:3], s[6:7], v[64:65] neg_lo:[0,0,1] neg_hi:[0,0,1]
	v_pk_fma_f32 v[34:35], v[10:11], s[0:1], v[92:93] neg_lo:[0,0,1] neg_hi:[0,0,1]
	v_mov_b32_e32 v89, v33
	v_pk_fma_f32 v[32:33], v[12:13], s[16:17], v[90:91] neg_lo:[0,0,1] neg_hi:[0,0,1]
	v_mov_b32_e32 v99, v35
	v_mov_b32_e32 v95, v33
	v_pk_add_f32 v[32:33], v[88:89], v[0:1]
	v_pk_fma_f32 v[34:35], v[8:9], s[8:9], v[96:97] neg_lo:[0,0,1] neg_hi:[0,0,1]
	v_pk_add_f32 v[32:33], v[32:33], v[94:95]
	v_mov_b32_e32 v103, v35
	v_pk_add_f32 v[32:33], v[32:33], v[98:99]
	v_pk_fma_f32 v[34:35], v[6:7], s[24:25], v[100:101] neg_lo:[0,0,1] neg_hi:[0,0,1]
	v_pk_add_f32 v[32:33], v[32:33], v[102:103]
	v_mov_b32_e32 v107, v35
	v_pk_add_f32 v[32:33], v[32:33], v[106:107]
	global_store_dwordx2 v[4:5], v[32:33], off offset:3080
	v_pk_fma_f32 v[32:33], v[2:3], s[4:5], v[44:45] neg_lo:[0,0,1] neg_hi:[0,0,1]
	v_pk_fma_f32 v[34:35], v[12:13], s[12:13], v[70:71] neg_lo:[0,0,1] neg_hi:[0,0,1]
	v_mov_b32_e32 v69, v33
	v_pk_add_f32 v[32:33], v[68:69], v[0:1]
	v_mov_b32_e32 v75, v35
	v_pk_fma_f32 v[34:35], v[10:11], s[24:25], v[72:73] neg_lo:[0,0,1] neg_hi:[0,0,1]
	v_pk_add_f32 v[32:33], v[32:33], v[74:75]
	v_mov_b32_e32 v79, v35
	v_pk_fma_f32 v[34:35], v[8:9], s[0:1], v[76:77] neg_lo:[0,0,1] neg_hi:[0,0,1]
	v_pk_add_f32 v[32:33], v[32:33], v[78:79]
	v_mov_b32_e32 v83, v35
	v_pk_fma_f32 v[34:35], v[6:7], s[6:7], v[80:81] neg_lo:[0,0,1] neg_hi:[0,0,1]
	v_pk_add_f32 v[32:33], v[32:33], v[82:83]
	v_mov_b32_e32 v87, v35
	v_pk_add_f32 v[32:33], v[32:33], v[86:87]
	global_store_dwordx2 v[4:5], v[32:33], off offset:3520
	v_pk_fma_f32 v[32:33], v[2:3], s[2:3], v[38:39] neg_lo:[0,0,1] neg_hi:[0,0,1]
	v_pk_fma_f32 v[2:3], v[2:3], s[0:1], v[14:15] neg_lo:[0,0,1] neg_hi:[0,0,1]
	v_mov_b32_e32 v49, v33
	v_pk_fma_f32 v[34:35], v[12:13], s[6:7], v[50:51] neg_lo:[0,0,1] neg_hi:[0,0,1]
	v_mov_b32_e32 v17, v3
	v_pk_fma_f32 v[2:3], v[12:13], s[2:3], v[18:19] neg_lo:[0,0,1] neg_hi:[0,0,1]
	v_pk_add_f32 v[32:33], v[48:49], v[0:1]
	v_mov_b32_e32 v55, v35
	v_pk_fma_f32 v[34:35], v[10:11], s[12:13], v[52:53] neg_lo:[0,0,1] neg_hi:[0,0,1]
	v_pk_add_f32 v[0:1], v[16:17], v[0:1]
	;; [unrolled: 3-line block ×7, first 2 shown]
	v_mov_b32_e32 v67, v35
	v_pk_add_f32 v[0:1], v[0:1], v[28:29]
	v_mov_b32_e32 v47, v3
	v_add_co_u32_e32 v2, vcc, 0x1000, v4
	v_pk_add_f32 v[84:85], v[84:85], v[108:109]
	v_pk_add_f32 v[32:33], v[32:33], v[66:67]
	;; [unrolled: 1-line block ×3, first 2 shown]
	v_addc_co_u32_e32 v3, vcc, 0, v5, vcc
	global_store_dwordx2 v[4:5], v[84:85], off offset:2200
	global_store_dwordx2 v[4:5], v[32:33], off offset:3960
	;; [unrolled: 1-line block ×3, first 2 shown]
.LBB0_19:
	s_endpgm
	.section	.rodata,"a",@progbits
	.p2align	6, 0x0
	.amdhsa_kernel fft_rtc_fwd_len605_factors_11_5_11_wgs_55_tpt_55_sp_op_CI_CI_unitstride_sbrr_dirReg
		.amdhsa_group_segment_fixed_size 0
		.amdhsa_private_segment_fixed_size 0
		.amdhsa_kernarg_size 104
		.amdhsa_user_sgpr_count 2
		.amdhsa_user_sgpr_dispatch_ptr 0
		.amdhsa_user_sgpr_queue_ptr 0
		.amdhsa_user_sgpr_kernarg_segment_ptr 1
		.amdhsa_user_sgpr_dispatch_id 0
		.amdhsa_user_sgpr_kernarg_preload_length 0
		.amdhsa_user_sgpr_kernarg_preload_offset 0
		.amdhsa_user_sgpr_private_segment_size 0
		.amdhsa_uses_dynamic_stack 0
		.amdhsa_enable_private_segment 0
		.amdhsa_system_sgpr_workgroup_id_x 1
		.amdhsa_system_sgpr_workgroup_id_y 0
		.amdhsa_system_sgpr_workgroup_id_z 0
		.amdhsa_system_sgpr_workgroup_info 0
		.amdhsa_system_vgpr_workitem_id 0
		.amdhsa_next_free_vgpr 128
		.amdhsa_next_free_sgpr 40
		.amdhsa_accum_offset 128
		.amdhsa_reserve_vcc 1
		.amdhsa_float_round_mode_32 0
		.amdhsa_float_round_mode_16_64 0
		.amdhsa_float_denorm_mode_32 3
		.amdhsa_float_denorm_mode_16_64 3
		.amdhsa_dx10_clamp 1
		.amdhsa_ieee_mode 1
		.amdhsa_fp16_overflow 0
		.amdhsa_tg_split 0
		.amdhsa_exception_fp_ieee_invalid_op 0
		.amdhsa_exception_fp_denorm_src 0
		.amdhsa_exception_fp_ieee_div_zero 0
		.amdhsa_exception_fp_ieee_overflow 0
		.amdhsa_exception_fp_ieee_underflow 0
		.amdhsa_exception_fp_ieee_inexact 0
		.amdhsa_exception_int_div_zero 0
	.end_amdhsa_kernel
	.text
.Lfunc_end0:
	.size	fft_rtc_fwd_len605_factors_11_5_11_wgs_55_tpt_55_sp_op_CI_CI_unitstride_sbrr_dirReg, .Lfunc_end0-fft_rtc_fwd_len605_factors_11_5_11_wgs_55_tpt_55_sp_op_CI_CI_unitstride_sbrr_dirReg
                                        ; -- End function
	.section	.AMDGPU.csdata,"",@progbits
; Kernel info:
; codeLenInByte = 7504
; NumSgprs: 46
; NumVgprs: 128
; NumAgprs: 0
; TotalNumVgprs: 128
; ScratchSize: 0
; MemoryBound: 0
; FloatMode: 240
; IeeeMode: 1
; LDSByteSize: 0 bytes/workgroup (compile time only)
; SGPRBlocks: 5
; VGPRBlocks: 15
; NumSGPRsForWavesPerEU: 46
; NumVGPRsForWavesPerEU: 128
; AccumOffset: 128
; Occupancy: 4
; WaveLimiterHint : 1
; COMPUTE_PGM_RSRC2:SCRATCH_EN: 0
; COMPUTE_PGM_RSRC2:USER_SGPR: 2
; COMPUTE_PGM_RSRC2:TRAP_HANDLER: 0
; COMPUTE_PGM_RSRC2:TGID_X_EN: 1
; COMPUTE_PGM_RSRC2:TGID_Y_EN: 0
; COMPUTE_PGM_RSRC2:TGID_Z_EN: 0
; COMPUTE_PGM_RSRC2:TIDIG_COMP_CNT: 0
; COMPUTE_PGM_RSRC3_GFX90A:ACCUM_OFFSET: 31
; COMPUTE_PGM_RSRC3_GFX90A:TG_SPLIT: 0
	.text
	.p2alignl 6, 3212836864
	.fill 256, 4, 3212836864
	.type	__hip_cuid_425699ecc9795e76,@object ; @__hip_cuid_425699ecc9795e76
	.section	.bss,"aw",@nobits
	.globl	__hip_cuid_425699ecc9795e76
__hip_cuid_425699ecc9795e76:
	.byte	0                               ; 0x0
	.size	__hip_cuid_425699ecc9795e76, 1

	.ident	"AMD clang version 19.0.0git (https://github.com/RadeonOpenCompute/llvm-project roc-6.4.0 25133 c7fe45cf4b819c5991fe208aaa96edf142730f1d)"
	.section	".note.GNU-stack","",@progbits
	.addrsig
	.addrsig_sym __hip_cuid_425699ecc9795e76
	.amdgpu_metadata
---
amdhsa.kernels:
  - .agpr_count:     0
    .args:
      - .actual_access:  read_only
        .address_space:  global
        .offset:         0
        .size:           8
        .value_kind:     global_buffer
      - .offset:         8
        .size:           8
        .value_kind:     by_value
      - .actual_access:  read_only
        .address_space:  global
        .offset:         16
        .size:           8
        .value_kind:     global_buffer
      - .actual_access:  read_only
        .address_space:  global
        .offset:         24
        .size:           8
        .value_kind:     global_buffer
      - .actual_access:  read_only
        .address_space:  global
        .offset:         32
        .size:           8
        .value_kind:     global_buffer
      - .offset:         40
        .size:           8
        .value_kind:     by_value
      - .actual_access:  read_only
        .address_space:  global
        .offset:         48
        .size:           8
        .value_kind:     global_buffer
      - .actual_access:  read_only
        .address_space:  global
        .offset:         56
        .size:           8
        .value_kind:     global_buffer
      - .offset:         64
        .size:           4
        .value_kind:     by_value
      - .actual_access:  read_only
        .address_space:  global
        .offset:         72
        .size:           8
        .value_kind:     global_buffer
      - .actual_access:  read_only
        .address_space:  global
        .offset:         80
        .size:           8
        .value_kind:     global_buffer
      - .actual_access:  read_only
        .address_space:  global
        .offset:         88
        .size:           8
        .value_kind:     global_buffer
      - .actual_access:  write_only
        .address_space:  global
        .offset:         96
        .size:           8
        .value_kind:     global_buffer
    .group_segment_fixed_size: 0
    .kernarg_segment_align: 8
    .kernarg_segment_size: 104
    .language:       OpenCL C
    .language_version:
      - 2
      - 0
    .max_flat_workgroup_size: 55
    .name:           fft_rtc_fwd_len605_factors_11_5_11_wgs_55_tpt_55_sp_op_CI_CI_unitstride_sbrr_dirReg
    .private_segment_fixed_size: 0
    .sgpr_count:     46
    .sgpr_spill_count: 0
    .symbol:         fft_rtc_fwd_len605_factors_11_5_11_wgs_55_tpt_55_sp_op_CI_CI_unitstride_sbrr_dirReg.kd
    .uniform_work_group_size: 1
    .uses_dynamic_stack: false
    .vgpr_count:     128
    .vgpr_spill_count: 0
    .wavefront_size: 64
amdhsa.target:   amdgcn-amd-amdhsa--gfx950
amdhsa.version:
  - 1
  - 2
...

	.end_amdgpu_metadata
